;; amdgpu-corpus repo=ROCm/rocFFT kind=compiled arch=gfx906 opt=O3
	.text
	.amdgcn_target "amdgcn-amd-amdhsa--gfx906"
	.amdhsa_code_object_version 6
	.protected	fft_rtc_fwd_len256_factors_8_4_8_wgs_512_tpt_32_dim3_dp_ip_CI_sbcc_twdbase8_3step_dirReg ; -- Begin function fft_rtc_fwd_len256_factors_8_4_8_wgs_512_tpt_32_dim3_dp_ip_CI_sbcc_twdbase8_3step_dirReg
	.globl	fft_rtc_fwd_len256_factors_8_4_8_wgs_512_tpt_32_dim3_dp_ip_CI_sbcc_twdbase8_3step_dirReg
	.p2align	8
	.type	fft_rtc_fwd_len256_factors_8_4_8_wgs_512_tpt_32_dim3_dp_ip_CI_sbcc_twdbase8_3step_dirReg,@function
fft_rtc_fwd_len256_factors_8_4_8_wgs_512_tpt_32_dim3_dp_ip_CI_sbcc_twdbase8_3step_dirReg: ; @fft_rtc_fwd_len256_factors_8_4_8_wgs_512_tpt_32_dim3_dp_ip_CI_sbcc_twdbase8_3step_dirReg
; %bb.0:
	s_load_dwordx4 s[0:3], s[4:5], 0x10
	s_mov_b32 s7, 0
	s_mov_b64 s[20:21], 0
	s_waitcnt lgkmcnt(0)
	s_load_dwordx2 s[16:17], s[0:1], 0x8
	s_waitcnt lgkmcnt(0)
	s_add_u32 s8, s16, -1
	s_addc_u32 s9, s17, -1
	s_lshr_b64 s[8:9], s[8:9], 4
	s_add_u32 s18, s8, 1
	s_addc_u32 s19, s9, 0
	v_mov_b32_e32 v1, s18
	v_mov_b32_e32 v2, s19
	v_cmp_lt_u64_e32 vcc, s[6:7], v[1:2]
	s_cbranch_vccnz .LBB0_2
; %bb.1:
	v_cvt_f32_u32_e32 v1, s18
	s_sub_i32 s8, 0, s18
	s_mov_b32 s21, s7
	v_rcp_iflag_f32_e32 v1, v1
	v_mul_f32_e32 v1, 0x4f7ffffe, v1
	v_cvt_u32_f32_e32 v1, v1
	v_readfirstlane_b32 s9, v1
	s_mul_i32 s8, s8, s9
	s_mul_hi_u32 s8, s9, s8
	s_add_i32 s9, s9, s8
	s_mul_hi_u32 s8, s6, s9
	s_mul_i32 s10, s8, s18
	s_sub_i32 s10, s6, s10
	s_add_i32 s9, s8, 1
	s_sub_i32 s11, s10, s18
	s_cmp_ge_u32 s10, s18
	s_cselect_b32 s8, s9, s8
	s_cselect_b32 s10, s11, s10
	s_add_i32 s9, s8, 1
	s_cmp_ge_u32 s10, s18
	s_cselect_b32 s20, s9, s8
.LBB0_2:
	s_load_dwordx2 s[8:9], s[0:1], 0x10
	s_load_dwordx2 s[10:11], s[2:3], 0x8
	s_mov_b64 s[0:1], s[20:21]
	s_waitcnt lgkmcnt(0)
	v_mov_b32_e32 v1, s8
	v_mov_b32_e32 v2, s9
	v_cmp_lt_u64_e32 vcc, s[20:21], v[1:2]
	s_cbranch_vccnz .LBB0_4
; %bb.3:
	v_cvt_f32_u32_e32 v1, s8
	s_sub_i32 s0, 0, s8
	v_rcp_iflag_f32_e32 v1, v1
	v_mul_f32_e32 v1, 0x4f7ffffe, v1
	v_cvt_u32_f32_e32 v1, v1
	v_readfirstlane_b32 s1, v1
	s_mul_i32 s0, s0, s1
	s_mul_hi_u32 s0, s1, s0
	s_add_i32 s1, s1, s0
	s_mul_hi_u32 s0, s20, s1
	s_mul_i32 s0, s0, s8
	s_sub_i32 s0, s20, s0
	s_sub_i32 s1, s0, s8
	s_cmp_ge_u32 s0, s8
	s_cselect_b32 s0, s1, s0
	s_sub_i32 s1, s0, s8
	s_cmp_ge_u32 s0, s8
	s_cselect_b32 s0, s1, s0
.LBB0_4:
	s_mul_i32 s1, s8, s19
	s_mul_hi_u32 s14, s8, s18
	s_add_i32 s1, s14, s1
	s_mul_i32 s9, s9, s18
	s_mul_i32 s14, s8, s18
	s_load_dwordx2 s[12:13], s[4:5], 0x50
	s_add_i32 s15, s1, s9
	s_load_dwordx2 s[8:9], s[2:3], 0x0
	s_load_dwordx2 s[22:23], s[2:3], 0x10
	v_mov_b32_e32 v1, s14
	v_mov_b32_e32 v2, s15
	v_cmp_lt_u64_e32 vcc, s[6:7], v[1:2]
	s_mov_b64 s[24:25], 0
	s_cbranch_vccnz .LBB0_6
; %bb.5:
	v_cvt_f32_u32_e32 v1, s14
	s_sub_i32 s1, 0, s14
	v_rcp_iflag_f32_e32 v1, v1
	v_mul_f32_e32 v1, 0x4f7ffffe, v1
	v_cvt_u32_f32_e32 v1, v1
	v_readfirstlane_b32 s7, v1
	s_mul_i32 s1, s1, s7
	s_mul_hi_u32 s1, s7, s1
	s_add_i32 s7, s7, s1
	s_mul_hi_u32 s1, s6, s7
	s_mul_i32 s15, s1, s14
	s_sub_i32 s15, s6, s15
	s_add_i32 s7, s1, 1
	s_sub_i32 s21, s15, s14
	s_cmp_ge_u32 s15, s14
	s_cselect_b32 s1, s7, s1
	s_cselect_b32 s15, s21, s15
	s_add_i32 s7, s1, 1
	s_cmp_ge_u32 s15, s14
	s_cselect_b32 s24, s7, s1
.LBB0_6:
	s_mul_i32 s1, s20, s19
	s_mul_hi_u32 s7, s20, s18
	s_add_i32 s7, s7, s1
	s_mul_i32 s1, s20, s18
	s_sub_u32 s6, s6, s1
	s_subb_u32 s7, 0, s7
	v_mov_b32_e32 v1, s6
	v_alignbit_b32 v1, s7, v1, 28
	s_load_dwordx2 s[2:3], s[2:3], 0x18
	s_lshl_b64 s[18:19], s[6:7], 4
	v_readfirstlane_b32 s1, v1
	s_mul_i32 s1, s10, s1
	s_mul_hi_u32 s6, s10, s18
	s_add_i32 s1, s6, s1
	s_mul_i32 s6, s11, s18
	s_waitcnt lgkmcnt(0)
	s_mul_i32 s7, s23, s0
	s_mul_hi_u32 s20, s22, s0
	s_add_i32 s1, s1, s6
	s_mul_i32 s6, s10, s18
	s_add_i32 s20, s20, s7
	s_mul_i32 s0, s22, s0
	s_add_u32 s0, s0, s6
	s_mul_i32 s3, s3, s24
	s_mul_hi_u32 s6, s2, s24
	s_addc_u32 s1, s20, s1
	s_add_i32 s6, s6, s3
	s_mul_i32 s2, s2, s24
	s_add_u32 s2, s2, s0
	s_addc_u32 s3, s6, s1
	s_load_dwordx2 s[14:15], s[4:5], 0x0
	s_add_u32 s6, s18, 16
	v_mov_b32_e32 v1, s16
	s_addc_u32 s7, s19, 0
	v_mov_b32_e32 v2, s17
	v_cmp_gt_u64_e32 vcc, s[6:7], v[1:2]
	v_and_b32_e32 v55, 15, v0
	v_cmp_le_u64_e64 s[0:1], s[6:7], v[1:2]
	v_or_b32_e32 v33, s18, v55
	v_mov_b32_e32 v34, s19
	v_lshrrev_b32_e32 v54, 4, v0
	s_cbranch_vccz .LBB0_12
; %bb.7:
	v_cmp_le_u64_e32 vcc, s[16:17], v[33:34]
                                        ; implicit-def: $vgpr35
	s_and_saveexec_b64 s[6:7], vcc
	s_xor_b64 s[6:7], exec, s[6:7]
; %bb.8:
	v_or_b32_e32 v35, 32, v54
; %bb.9:
	s_or_saveexec_b64 s[6:7], s[6:7]
                                        ; implicit-def: $vgpr1_vgpr2
                                        ; implicit-def: $vgpr25_vgpr26
                                        ; implicit-def: $vgpr29_vgpr30
                                        ; implicit-def: $vgpr17_vgpr18
                                        ; implicit-def: $vgpr21_vgpr22
                                        ; implicit-def: $vgpr9_vgpr10
                                        ; implicit-def: $vgpr13_vgpr14
                                        ; implicit-def: $vgpr5_vgpr6
	s_xor_b64 exec, exec, s[6:7]
	s_cbranch_execz .LBB0_11
; %bb.10:
	v_mad_u64_u32 v[1:2], s[18:19], s10, v55, 0
	v_mad_u64_u32 v[3:4], s[18:19], s8, v54, 0
	v_or_b32_e32 v35, 32, v54
	v_or_b32_e32 v18, 0x60, v54
	v_mad_u64_u32 v[5:6], s[18:19], s11, v55, v[2:3]
	v_mov_b32_e32 v2, v4
	v_mad_u64_u32 v[6:7], s[18:19], s9, v54, v[2:3]
	s_lshl_b64 s[18:19], s[2:3], 4
	s_add_u32 s20, s12, s18
	s_addc_u32 s18, s13, s19
	v_mov_b32_e32 v2, v5
	v_mov_b32_e32 v4, v6
	;; [unrolled: 1-line block ×3, first 2 shown]
	v_mad_u64_u32 v[5:6], s[18:19], s8, v35, 0
	v_lshlrev_b64 v[1:2], 4, v[1:2]
	v_or_b32_e32 v27, 0xa0, v54
	v_add_co_u32_e32 v38, vcc, s20, v1
	v_addc_co_u32_e32 v39, vcc, v7, v2, vcc
	v_lshlrev_b64 v[1:2], 4, v[3:4]
	v_mov_b32_e32 v3, v6
	v_mad_u64_u32 v[3:4], s[18:19], s9, v35, v[3:4]
	v_add_co_u32_e32 v9, vcc, v38, v1
	v_mov_b32_e32 v6, v3
	v_or_b32_e32 v3, 64, v54
	v_mad_u64_u32 v[11:12], s[18:19], s8, v3, 0
	v_addc_co_u32_e32 v10, vcc, v39, v2, vcc
	v_lshlrev_b64 v[1:2], 4, v[5:6]
	v_add_co_u32_e32 v13, vcc, v38, v1
	v_mov_b32_e32 v1, v12
	v_mad_u64_u32 v[15:16], s[18:19], s9, v3, v[1:2]
	v_mad_u64_u32 v[16:17], s[18:19], s8, v18, 0
	v_mov_b32_e32 v12, v15
	v_addc_co_u32_e32 v14, vcc, v39, v2, vcc
	global_load_dwordx4 v[1:4], v[9:10], off
	global_load_dwordx4 v[5:8], v[13:14], off
	v_lshlrev_b64 v[9:10], 4, v[11:12]
	v_mov_b32_e32 v11, v17
	v_mad_u64_u32 v[11:12], s[18:19], s9, v18, v[11:12]
	v_add_co_u32_e32 v18, vcc, v38, v9
	v_mov_b32_e32 v17, v11
	v_or_b32_e32 v11, 0x80, v54
	v_mad_u64_u32 v[20:21], s[18:19], s8, v11, 0
	v_addc_co_u32_e32 v19, vcc, v39, v10, vcc
	v_lshlrev_b64 v[9:10], 4, v[16:17]
	v_add_co_u32_e32 v22, vcc, v38, v9
	v_mov_b32_e32 v9, v21
	v_mad_u64_u32 v[24:25], s[18:19], s9, v11, v[9:10]
	v_mad_u64_u32 v[25:26], s[18:19], s8, v27, 0
	v_addc_co_u32_e32 v23, vcc, v39, v10, vcc
	global_load_dwordx4 v[13:16], v[18:19], off
	global_load_dwordx4 v[9:12], v[22:23], off
	v_mov_b32_e32 v21, v24
	v_mov_b32_e32 v19, v26
	v_lshlrev_b64 v[17:18], 4, v[20:21]
	v_mad_u64_u32 v[19:20], s[18:19], s9, v27, v[19:20]
	v_or_b32_e32 v22, 0xc0, v54
	v_mad_u64_u32 v[20:21], s[18:19], s8, v22, 0
	v_mov_b32_e32 v26, v19
	v_add_co_u32_e32 v27, vcc, v38, v17
	v_mov_b32_e32 v19, v21
	v_mad_u64_u32 v[21:22], s[18:19], s9, v22, v[19:20]
	v_or_b32_e32 v22, 0xe0, v54
	v_addc_co_u32_e32 v28, vcc, v39, v18, vcc
	v_lshlrev_b64 v[17:18], 4, v[25:26]
	v_mad_u64_u32 v[25:26], s[18:19], s8, v22, 0
	v_add_co_u32_e32 v29, vcc, v38, v17
	v_mov_b32_e32 v19, v26
	v_mad_u64_u32 v[31:32], s[18:19], s9, v22, v[19:20]
	v_addc_co_u32_e32 v30, vcc, v39, v18, vcc
	v_lshlrev_b64 v[17:18], 4, v[20:21]
	v_mov_b32_e32 v26, v31
	v_add_co_u32_e32 v36, vcc, v38, v17
	v_lshlrev_b64 v[25:26], 4, v[25:26]
	v_addc_co_u32_e32 v37, vcc, v39, v18, vcc
	v_add_co_u32_e32 v38, vcc, v38, v25
	global_load_dwordx4 v[21:24], v[27:28], off
	global_load_dwordx4 v[17:20], v[29:30], off
	v_addc_co_u32_e32 v39, vcc, v39, v26, vcc
	global_load_dwordx4 v[29:32], v[36:37], off
	global_load_dwordx4 v[25:28], v[38:39], off
.LBB0_11:
	s_or_b64 exec, exec, s[6:7]
	v_or_b32_e32 v56, 32, v54
	s_cbranch_execz .LBB0_13
	s_branch .LBB0_14
.LBB0_12:
                                        ; implicit-def: $vgpr1_vgpr2
                                        ; implicit-def: $vgpr25_vgpr26
                                        ; implicit-def: $vgpr29_vgpr30
                                        ; implicit-def: $vgpr17_vgpr18
                                        ; implicit-def: $vgpr21_vgpr22
                                        ; implicit-def: $vgpr35
                                        ; implicit-def: $vgpr9_vgpr10
                                        ; implicit-def: $vgpr13_vgpr14
                                        ; implicit-def: $vgpr5_vgpr6
	v_or_b32_e32 v56, 32, v54
.LBB0_13:
	s_waitcnt vmcnt(7)
	v_mad_u64_u32 v[1:2], s[6:7], s10, v55, 0
	v_mad_u64_u32 v[3:4], s[6:7], s8, v54, 0
	s_waitcnt vmcnt(2)
	v_or_b32_e32 v18, 0x60, v54
	s_waitcnt vmcnt(0)
	v_or_b32_e32 v27, 0xa0, v54
	v_mad_u64_u32 v[5:6], s[6:7], s11, v55, v[2:3]
	v_mov_b32_e32 v2, v4
	v_mad_u64_u32 v[6:7], s[6:7], s9, v54, v[2:3]
	s_lshl_b64 s[6:7], s[2:3], 4
	s_add_u32 s18, s12, s6
	s_addc_u32 s6, s13, s7
	v_mov_b32_e32 v2, v5
	v_mov_b32_e32 v4, v6
	;; [unrolled: 1-line block ×3, first 2 shown]
	v_mad_u64_u32 v[5:6], s[6:7], s8, v56, 0
	v_lshlrev_b64 v[1:2], 4, v[1:2]
	v_add_co_u32_e32 v37, vcc, s18, v1
	v_addc_co_u32_e32 v38, vcc, v7, v2, vcc
	v_lshlrev_b64 v[1:2], 4, v[3:4]
	v_mov_b32_e32 v3, v6
	v_mad_u64_u32 v[3:4], s[6:7], s9, v56, v[3:4]
	v_add_co_u32_e32 v9, vcc, v37, v1
	v_mov_b32_e32 v6, v3
	v_or_b32_e32 v3, 64, v54
	v_mad_u64_u32 v[11:12], s[6:7], s8, v3, 0
	v_addc_co_u32_e32 v10, vcc, v38, v2, vcc
	v_lshlrev_b64 v[1:2], 4, v[5:6]
	v_add_co_u32_e32 v13, vcc, v37, v1
	v_mov_b32_e32 v1, v12
	v_mad_u64_u32 v[15:16], s[6:7], s9, v3, v[1:2]
	v_mad_u64_u32 v[16:17], s[6:7], s8, v18, 0
	v_mov_b32_e32 v12, v15
	v_addc_co_u32_e32 v14, vcc, v38, v2, vcc
	global_load_dwordx4 v[1:4], v[9:10], off
	global_load_dwordx4 v[5:8], v[13:14], off
	v_lshlrev_b64 v[9:10], 4, v[11:12]
	v_mov_b32_e32 v11, v17
	v_mad_u64_u32 v[11:12], s[6:7], s9, v18, v[11:12]
	v_add_co_u32_e32 v18, vcc, v37, v9
	v_mov_b32_e32 v17, v11
	v_or_b32_e32 v11, 0x80, v54
	v_mad_u64_u32 v[20:21], s[6:7], s8, v11, 0
	v_addc_co_u32_e32 v19, vcc, v38, v10, vcc
	v_lshlrev_b64 v[9:10], 4, v[16:17]
	v_add_co_u32_e32 v22, vcc, v37, v9
	v_mov_b32_e32 v9, v21
	v_mad_u64_u32 v[24:25], s[6:7], s9, v11, v[9:10]
	v_mad_u64_u32 v[25:26], s[6:7], s8, v27, 0
	v_addc_co_u32_e32 v23, vcc, v38, v10, vcc
	global_load_dwordx4 v[13:16], v[18:19], off
	global_load_dwordx4 v[9:12], v[22:23], off
	v_mov_b32_e32 v21, v24
	v_mov_b32_e32 v19, v26
	v_lshlrev_b64 v[17:18], 4, v[20:21]
	v_mad_u64_u32 v[19:20], s[6:7], s9, v27, v[19:20]
	v_or_b32_e32 v22, 0xc0, v54
	v_mad_u64_u32 v[20:21], s[6:7], s8, v22, 0
	v_mov_b32_e32 v26, v19
	v_add_co_u32_e32 v27, vcc, v37, v17
	v_mov_b32_e32 v19, v21
	v_mad_u64_u32 v[21:22], s[6:7], s9, v22, v[19:20]
	v_or_b32_e32 v22, 0xe0, v54
	v_addc_co_u32_e32 v28, vcc, v38, v18, vcc
	v_lshlrev_b64 v[17:18], 4, v[25:26]
	v_mad_u64_u32 v[25:26], s[6:7], s8, v22, 0
	v_add_co_u32_e32 v29, vcc, v37, v17
	v_mov_b32_e32 v19, v26
	v_mad_u64_u32 v[31:32], s[6:7], s9, v22, v[19:20]
	v_addc_co_u32_e32 v30, vcc, v38, v18, vcc
	v_lshlrev_b64 v[17:18], 4, v[20:21]
	v_mov_b32_e32 v26, v31
	v_add_co_u32_e32 v35, vcc, v37, v17
	v_lshlrev_b64 v[25:26], 4, v[25:26]
	v_addc_co_u32_e32 v36, vcc, v38, v18, vcc
	v_add_co_u32_e32 v37, vcc, v37, v25
	global_load_dwordx4 v[21:24], v[27:28], off
	global_load_dwordx4 v[17:20], v[29:30], off
	v_addc_co_u32_e32 v38, vcc, v38, v26, vcc
	global_load_dwordx4 v[29:32], v[35:36], off
	global_load_dwordx4 v[25:28], v[37:38], off
	v_mov_b32_e32 v35, v56
.LBB0_14:
	s_waitcnt vmcnt(3)
	v_add_f64 v[21:22], v[1:2], -v[21:22]
	v_add_f64 v[23:24], v[3:4], -v[23:24]
	s_waitcnt vmcnt(1)
	v_add_f64 v[29:30], v[13:14], -v[29:30]
	v_add_f64 v[31:32], v[15:16], -v[31:32]
	;; [unrolled: 1-line block ×4, first 2 shown]
	s_waitcnt vmcnt(0)
	v_add_f64 v[25:26], v[9:10], -v[25:26]
	v_add_f64 v[27:28], v[11:12], -v[27:28]
	v_fma_f64 v[1:2], v[1:2], 2.0, -v[21:22]
	v_fma_f64 v[3:4], v[3:4], 2.0, -v[23:24]
	;; [unrolled: 1-line block ×4, first 2 shown]
	v_add_f64 v[31:32], v[21:22], -v[31:32]
	v_fma_f64 v[5:6], v[5:6], 2.0, -v[17:18]
	v_fma_f64 v[7:8], v[7:8], 2.0, -v[19:20]
	;; [unrolled: 1-line block ×4, first 2 shown]
	v_add_f64 v[42:43], v[29:30], v[23:24]
	v_add_f64 v[27:28], v[17:18], -v[27:28]
	v_add_f64 v[25:26], v[19:20], v[25:26]
	v_fma_f64 v[29:30], v[21:22], 2.0, -v[31:32]
	v_add_f64 v[38:39], v[1:2], -v[13:14]
	v_add_f64 v[40:41], v[3:4], -v[15:16]
	;; [unrolled: 1-line block ×4, first 2 shown]
	v_fma_f64 v[36:37], v[23:24], 2.0, -v[42:43]
	v_fma_f64 v[12:13], v[17:18], 2.0, -v[27:28]
	;; [unrolled: 1-line block ×3, first 2 shown]
	s_mov_b32 s6, 0x667f3bcd
	s_mov_b32 s7, 0xbfe6a09e
	v_fma_f64 v[23:24], v[1:2], 2.0, -v[38:39]
	v_fma_f64 v[44:45], v[3:4], 2.0, -v[40:41]
	v_fma_f64 v[1:2], v[5:6], 2.0, -v[21:22]
	v_fma_f64 v[3:4], v[7:8], 2.0, -v[14:15]
	v_fma_f64 v[5:6], v[12:13], s[6:7], v[29:30]
	v_fma_f64 v[7:8], v[9:10], s[6:7], v[36:37]
	s_mov_b32 s19, 0x3fe6a09e
	s_mov_b32 s18, s6
	v_fma_f64 v[18:19], v[27:28], s[18:19], v[31:32]
	v_fma_f64 v[46:47], v[25:26], s[18:19], v[42:43]
	v_add_f64 v[1:2], v[23:24], -v[1:2]
	v_add_f64 v[3:4], v[44:45], -v[3:4]
	v_fma_f64 v[10:11], v[9:10], s[6:7], v[5:6]
	v_fma_f64 v[12:13], v[12:13], s[18:19], v[7:8]
	v_add_f64 v[14:15], v[38:39], -v[14:15]
	v_add_f64 v[16:17], v[21:22], v[40:41]
	v_fma_f64 v[18:19], v[25:26], s[6:7], v[18:19]
	v_fma_f64 v[20:21], v[27:28], s[18:19], v[46:47]
	v_fma_f64 v[22:23], v[23:24], 2.0, -v[1:2]
	v_fma_f64 v[24:25], v[44:45], 2.0, -v[3:4]
	;; [unrolled: 1-line block ×8, first 2 shown]
	v_lshlrev_b32_e32 v5, 11, v54
	v_lshlrev_b32_e32 v8, 4, v55
	v_add3_u32 v9, 0, v5, v8
	ds_write_b128 v9, v[22:25]
	ds_write_b128 v9, v[26:29] offset:256
	ds_write_b128 v9, v[36:39] offset:512
	;; [unrolled: 1-line block ×7, first 2 shown]
	v_bfe_u32 v15, v0, 4, 3
	v_mul_u32_u24_e32 v0, 3, v15
	v_lshlrev_b32_e32 v10, 4, v0
	s_waitcnt lgkmcnt(0)
	s_barrier
	global_load_dwordx4 v[11:14], v10, s[14:15]
	global_load_dwordx4 v[4:7], v10, s[14:15] offset:16
	global_load_dwordx4 v[0:3], v10, s[14:15] offset:32
	s_movk_i32 s20, 0xf900
	s_movk_i32 s21, 0x60
	v_lshlrev_b32_e32 v16, 2, v54
	v_lshlrev_b32_e32 v10, 8, v35
	;; [unrolled: 1-line block ×3, first 2 shown]
	s_movk_i32 s22, 0x1e0
	v_and_or_b32 v18, v16, s21, v15
	v_mad_i32_i24 v16, v54, s20, v9
	v_cmp_gt_u64_e32 vcc, s[16:17], v[33:34]
	v_add3_u32 v10, 0, v10, v8
	v_and_or_b32 v15, v17, s22, v15
	v_lshlrev_b32_e32 v9, 8, v18
	ds_read_b128 v[17:20], v16 offset:16384
	ds_read_b128 v[21:24], v16 offset:24576
	;; [unrolled: 1-line block ×6, first 2 shown]
	ds_read_b128 v[42:45], v16
	ds_read_b128 v[46:49], v10
	v_lshlrev_b32_e32 v15, 8, v15
	v_add3_u32 v69, 0, v9, v8
	v_add3_u32 v15, 0, v15, v8
	s_or_b64 s[0:1], s[0:1], vcc
	s_waitcnt vmcnt(0) lgkmcnt(0)
	s_barrier
	v_mul_f64 v[8:9], v[19:20], v[13:14]
	v_mul_f64 v[50:51], v[17:18], v[13:14]
	;; [unrolled: 1-line block ×12, first 2 shown]
	v_fma_f64 v[8:9], v[17:18], v[11:12], -v[8:9]
	v_fma_f64 v[17:18], v[19:20], v[11:12], v[50:51]
	v_fma_f64 v[19:20], v[21:22], v[11:12], -v[52:53]
	v_fma_f64 v[11:12], v[23:24], v[11:12], v[13:14]
	;; [unrolled: 2-line block ×6, first 2 shown]
	v_add_f64 v[29:30], v[42:43], -v[13:14]
	v_add_f64 v[31:32], v[44:45], -v[21:22]
	v_add_f64 v[2:3], v[8:9], -v[23:24]
	v_add_f64 v[13:14], v[17:18], -v[25:26]
	v_add_f64 v[25:26], v[46:47], -v[27:28]
	v_add_f64 v[27:28], v[48:49], -v[4:5]
	v_add_f64 v[6:7], v[19:20], -v[6:7]
	v_add_f64 v[4:5], v[11:12], -v[0:1]
	v_fma_f64 v[34:35], v[42:43], 2.0, -v[29:30]
	v_fma_f64 v[36:37], v[44:45], 2.0, -v[31:32]
	;; [unrolled: 1-line block ×8, first 2 shown]
	v_add_f64 v[0:1], v[29:30], -v[13:14]
	v_add_f64 v[2:3], v[31:32], v[2:3]
	v_add_f64 v[11:12], v[34:35], -v[8:9]
	v_add_f64 v[13:14], v[36:37], -v[17:18]
	;; [unrolled: 1-line block ×3, first 2 shown]
	v_add_f64 v[6:7], v[27:28], v[6:7]
	v_add_f64 v[17:18], v[38:39], -v[19:20]
	v_add_f64 v[19:20], v[40:41], -v[21:22]
	v_fma_f64 v[21:22], v[29:30], 2.0, -v[0:1]
	v_fma_f64 v[23:24], v[31:32], 2.0, -v[2:3]
	;; [unrolled: 1-line block ×8, first 2 shown]
	ds_write_b128 v69, v[0:3] offset:6144
	ds_write_b128 v69, v[21:24] offset:2048
	;; [unrolled: 1-line block ×3, first 2 shown]
	ds_write_b128 v69, v[29:32]
	ds_write_b128 v15, v[34:37]
	ds_write_b128 v15, v[25:28] offset:2048
	ds_write_b128 v15, v[17:20] offset:4096
	;; [unrolled: 1-line block ×3, first 2 shown]
	s_waitcnt lgkmcnt(0)
	s_barrier
	s_and_saveexec_b64 s[16:17], s[0:1]
	s_cbranch_execz .LBB0_16
; %bb.15:
	v_mul_u32_u24_e32 v0, 7, v54
	v_lshlrev_b32_e32 v6, 4, v0
	ds_read_b128 v[18:21], v10
	global_load_dwordx4 v[8:11], v6, s[14:15] offset:432
	global_load_dwordx4 v[22:25], v6, s[14:15] offset:416
	;; [unrolled: 1-line block ×4, first 2 shown]
	ds_read_b128 v[50:53], v16 offset:40960
	global_load_dwordx4 v[57:60], v6, s[14:15] offset:480
	global_load_dwordx4 v[12:15], v6, s[14:15] offset:464
	;; [unrolled: 1-line block ×3, first 2 shown]
	ds_read_b128 v[65:68], v16 offset:24576
	ds_read_b128 v[69:72], v16 offset:57344
	s_load_dwordx2 s[0:1], s[4:5], 0x8
	v_mov_b32_e32 v32, 0x1000
	s_waitcnt vmcnt(3) lgkmcnt(0)
	v_mul_f64 v[4:5], v[20:21], v[44:45]
	v_fma_f64 v[26:27], v[18:19], v[42:43], -v[4:5]
	v_mul_f64 v[18:19], v[18:19], v[44:45]
	s_waitcnt vmcnt(0)
	v_mul_f64 v[4:5], v[52:53], v[63:64]
	v_fma_f64 v[48:49], v[20:21], v[42:43], v[18:19]
	v_mul_f64 v[18:19], v[50:51], v[63:64]
	v_fma_f64 v[4:5], v[50:51], v[61:62], -v[4:5]
	v_fma_f64 v[18:19], v[52:53], v[61:62], v[18:19]
	v_add_f64 v[34:35], v[26:27], -v[4:5]
	v_mul_f64 v[4:5], v[65:66], v[24:25]
	v_mov_b32_e32 v61, 0x2000
	v_add_f64 v[42:43], v[48:49], -v[18:19]
	v_mul_f64 v[18:19], v[67:68], v[24:25]
	v_fma_f64 v[30:31], v[67:68], v[22:23], v[4:5]
	v_mul_f64 v[4:5], v[69:70], v[59:60]
	v_fma_f64 v[66:67], v[65:66], v[22:23], -v[18:19]
	v_mul_f64 v[18:19], v[71:72], v[59:60]
	v_fma_f64 v[4:5], v[71:72], v[57:58], v[4:5]
	v_mov_b32_e32 v60, 4
	v_fma_f64 v[18:19], v[69:70], v[57:58], -v[18:19]
	v_or_b32_e32 v57, 0xe0, v54
	v_mul_lo_u32 v24, v33, v57
	v_add_f64 v[40:41], v[30:31], -v[4:5]
	ds_read_b128 v[4:7], v16
	ds_read_b128 v[73:76], v16 offset:32768
	ds_read_b128 v[77:80], v16 offset:16384
	;; [unrolled: 1-line block ×3, first 2 shown]
	v_bfe_u32 v20, v24, 16, 8
	v_lshl_or_b32 v20, v20, 4, v61
	global_load_dwordx4 v[50:53], v20, s[0:1]
	v_lshlrev_b32_sdwa v20, v60, v24 dst_sel:DWORD dst_unused:UNUSED_PAD src0_sel:DWORD src1_sel:BYTE_0
	v_bfe_u32 v24, v24, 8, 8
	v_lshl_or_b32 v24, v24, 4, v32
	global_load_dwordx4 v[20:23], v20, s[0:1]
	s_waitcnt lgkmcnt(2)
	v_mul_f64 v[28:29], v[73:74], v[10:11]
	global_load_dwordx4 v[62:65], v24, s[0:1]
	v_mul_f64 v[10:11], v[75:76], v[10:11]
	s_waitcnt lgkmcnt(0)
	v_mul_f64 v[16:17], v[83:84], v[14:15]
	v_add_f64 v[36:37], v[34:35], -v[40:41]
	v_add_f64 v[58:59], v[66:67], -v[18:19]
	v_fma_f64 v[28:29], v[75:76], v[8:9], v[28:29]
	v_fma_f64 v[8:9], v[73:74], v[8:9], -v[10:11]
	v_fma_f64 v[16:17], v[81:82], v[12:13], -v[16:17]
	v_add_f64 v[44:45], v[42:43], v[58:59]
	v_add_f64 v[38:39], v[6:7], -v[28:29]
	v_mul_f64 v[28:29], v[79:80], v[2:3]
	v_mul_f64 v[2:3], v[77:78], v[2:3]
	v_add_f64 v[8:9], v[4:5], -v[8:9]
	v_fma_f64 v[28:29], v[77:78], v[0:1], -v[28:29]
	v_fma_f64 v[10:11], v[79:80], v[0:1], v[2:3]
	v_mul_f64 v[0:1], v[81:82], v[14:15]
	v_add_f64 v[46:47], v[28:29], -v[16:17]
	v_fma_f64 v[0:1], v[83:84], v[12:13], v[0:1]
	v_add_f64 v[16:17], v[38:39], v[46:47]
	v_add_f64 v[12:13], v[10:11], -v[0:1]
	v_fma_f64 v[18:19], v[44:45], s[18:19], v[16:17]
	v_fma_f64 v[18:19], v[36:37], s[18:19], v[18:19]
	s_waitcnt vmcnt(0)
	v_mul_f64 v[24:25], v[22:23], v[64:65]
	v_fma_f64 v[24:25], v[20:21], v[62:63], -v[24:25]
	v_mul_f64 v[20:21], v[20:21], v[64:65]
	v_fma_f64 v[62:63], v[22:23], v[62:63], v[20:21]
	v_mul_f64 v[20:21], v[62:63], v[52:53]
	v_fma_f64 v[64:65], v[50:51], v[24:25], -v[20:21]
	v_add_f64 v[20:21], v[8:9], -v[12:13]
	v_fma_f64 v[0:1], v[36:37], s[18:19], v[20:21]
	v_fma_f64 v[22:23], v[44:45], s[6:7], v[0:1]
	v_mul_f64 v[0:1], v[24:25], v[52:53]
	v_fma_f64 v[0:1], v[50:51], v[62:63], v[0:1]
	v_fma_f64 v[50:51], v[6:7], 2.0, -v[38:39]
	v_fma_f64 v[6:7], v[10:11], 2.0, -v[12:13]
	;; [unrolled: 1-line block ×3, first 2 shown]
	v_mul_f64 v[2:3], v[22:23], v[0:1]
	v_mul_f64 v[0:1], v[18:19], v[0:1]
	v_add_f64 v[24:25], v[50:51], -v[6:7]
	v_fma_f64 v[6:7], v[66:67], 2.0, -v[58:59]
	v_or_b32_e32 v58, 0xc0, v54
	v_or_b32_e32 v59, 0xa0, v54
	v_fma_f64 v[2:3], v[18:19], v[64:65], v[2:3]
	v_fma_f64 v[0:1], v[22:23], v[64:65], -v[0:1]
	v_add_f64 v[14:15], v[12:13], -v[6:7]
	v_mul_lo_u32 v6, v33, v58
	v_bfe_u32 v7, v6, 16, 8
	v_lshl_or_b32 v7, v7, 4, v61
	global_load_dwordx4 v[62:65], v7, s[0:1]
	v_lshlrev_b32_sdwa v7, v60, v6 dst_sel:DWORD dst_unused:UNUSED_PAD src0_sel:DWORD src1_sel:BYTE_0
	v_bfe_u32 v6, v6, 8, 8
	v_lshl_or_b32 v6, v6, 4, v32
	global_load_dwordx4 v[66:69], v7, s[0:1]
	global_load_dwordx4 v[70:73], v6, s[0:1]
	v_add_f64 v[26:27], v[24:25], v[14:15]
	v_fma_f64 v[12:13], v[12:13], 2.0, -v[14:15]
	s_waitcnt vmcnt(0)
	v_mul_f64 v[10:11], v[66:67], v[72:73]
	v_mul_f64 v[6:7], v[68:69], v[72:73]
	v_fma_f64 v[10:11], v[68:69], v[70:71], v[10:11]
	v_fma_f64 v[6:7], v[66:67], v[70:71], -v[6:7]
	v_fma_f64 v[68:69], v[48:49], 2.0, -v[42:43]
	v_mul_f64 v[52:53], v[10:11], v[64:65]
	v_fma_f64 v[66:67], v[62:63], v[6:7], -v[52:53]
	v_fma_f64 v[52:53], v[4:5], 2.0, -v[8:9]
	v_fma_f64 v[4:5], v[28:29], 2.0, -v[46:47]
	v_mul_lo_u32 v46, v33, v59
	v_add_f64 v[28:29], v[52:53], -v[4:5]
	v_fma_f64 v[4:5], v[30:31], 2.0, -v[40:41]
	v_add_f64 v[70:71], v[68:69], -v[4:5]
	v_mul_f64 v[4:5], v[6:7], v[64:65]
	v_add_f64 v[30:31], v[28:29], -v[70:71]
	v_fma_f64 v[4:5], v[62:63], v[10:11], v[4:5]
	v_fma_f64 v[10:11], v[34:35], 2.0, -v[36:37]
	v_fma_f64 v[34:35], v[38:39], 2.0, -v[16:17]
	v_bfe_u32 v38, v46, 16, 8
	v_lshl_or_b32 v38, v38, 4, v61
	v_fma_f64 v[62:63], v[42:43], 2.0, -v[44:45]
	global_load_dwordx4 v[42:45], v38, s[0:1]
	v_lshlrev_b32_sdwa v38, v60, v46 dst_sel:DWORD dst_unused:UNUSED_PAD src0_sel:DWORD src1_sel:BYTE_0
	v_bfe_u32 v46, v46, 8, 8
	v_lshl_or_b32 v46, v46, 4, v32
	global_load_dwordx4 v[38:41], v38, s[0:1]
	v_mul_f64 v[6:7], v[30:31], v[4:5]
	global_load_dwordx4 v[46:49], v46, s[0:1]
	v_fma_f64 v[36:37], v[62:63], s[6:7], v[34:35]
	v_mul_f64 v[4:5], v[26:27], v[4:5]
	v_fma_f64 v[6:7], v[26:27], v[66:67], v[6:7]
	v_fma_f64 v[36:37], v[10:11], s[18:19], v[36:37]
	v_fma_f64 v[4:5], v[30:31], v[66:67], -v[4:5]
	s_waitcnt vmcnt(0)
	v_mul_f64 v[64:65], v[40:41], v[48:49]
	v_fma_f64 v[64:65], v[38:39], v[46:47], -v[64:65]
	v_mul_f64 v[38:39], v[38:39], v[48:49]
	v_fma_f64 v[46:47], v[40:41], v[46:47], v[38:39]
	v_mul_f64 v[38:39], v[46:47], v[44:45]
	v_fma_f64 v[48:49], v[42:43], v[64:65], -v[38:39]
	v_fma_f64 v[38:39], v[8:9], 2.0, -v[20:21]
	v_fma_f64 v[20:21], v[20:21], 2.0, -v[22:23]
	v_fma_f64 v[8:9], v[10:11], s[6:7], v[38:39]
	v_fma_f64 v[40:41], v[62:63], s[6:7], v[8:9]
	v_mul_f64 v[8:9], v[64:65], v[44:45]
	v_fma_f64 v[44:45], v[68:69], 2.0, -v[70:71]
	v_fma_f64 v[8:9], v[42:43], v[46:47], v[8:9]
	v_fma_f64 v[42:43], v[50:51], 2.0, -v[24:25]
	v_or_b32_e32 v50, 0x80, v54
	v_mul_lo_u32 v51, v33, v50
	v_bfe_u32 v46, v51, 16, 8
	v_mul_f64 v[10:11], v[40:41], v[8:9]
	v_mul_f64 v[8:9], v[36:37], v[8:9]
	v_lshl_or_b32 v46, v46, 4, v61
	global_load_dwordx4 v[62:65], v46, s[0:1]
	v_lshlrev_b32_sdwa v46, v60, v51 dst_sel:DWORD dst_unused:UNUSED_PAD src0_sel:DWORD src1_sel:BYTE_0
	v_bfe_u32 v51, v51, 8, 8
	v_lshl_or_b32 v51, v51, 4, v32
	global_load_dwordx4 v[66:69], v51, s[0:1]
	v_fma_f64 v[10:11], v[36:37], v[48:49], v[10:11]
	v_fma_f64 v[8:9], v[40:41], v[48:49], -v[8:9]
	global_load_dwordx4 v[46:49], v46, s[0:1]
	v_add_f64 v[44:45], v[42:43], -v[44:45]
	v_or_b32_e32 v51, 0x60, v54
	s_waitcnt vmcnt(0)
	v_mul_f64 v[70:71], v[48:49], v[68:69]
	v_fma_f64 v[70:71], v[46:47], v[66:67], -v[70:71]
	v_mul_f64 v[46:47], v[46:47], v[68:69]
	v_fma_f64 v[66:67], v[48:49], v[66:67], v[46:47]
	v_mul_f64 v[46:47], v[66:67], v[64:65]
	v_fma_f64 v[68:69], v[62:63], v[70:71], -v[46:47]
	v_fma_f64 v[46:47], v[52:53], 2.0, -v[28:29]
	v_fma_f64 v[52:53], v[16:17], 2.0, -v[18:19]
	;; [unrolled: 1-line block ×3, first 2 shown]
	v_add_f64 v[48:49], v[46:47], -v[12:13]
	v_mul_f64 v[12:13], v[70:71], v[64:65]
	v_fma_f64 v[12:13], v[62:63], v[66:67], v[12:13]
	v_mul_lo_u32 v66, v33, v51
	v_bfe_u32 v16, v66, 16, 8
	v_lshlrev_b32_sdwa v62, v60, v66 dst_sel:DWORD dst_unused:UNUSED_PAD src0_sel:DWORD src1_sel:BYTE_0
	v_bfe_u32 v66, v66, 8, 8
	v_mul_f64 v[14:15], v[48:49], v[12:13]
	v_mul_f64 v[12:13], v[44:45], v[12:13]
	v_lshl_or_b32 v16, v16, 4, v61
	v_lshl_or_b32 v66, v66, 4, v32
	global_load_dwordx4 v[16:19], v16, s[0:1]
	v_fma_f64 v[14:15], v[44:45], v[68:69], v[14:15]
	global_load_dwordx4 v[62:65], v62, s[0:1]
	v_fma_f64 v[12:13], v[48:49], v[68:69], -v[12:13]
	global_load_dwordx4 v[66:69], v66, s[0:1]
	s_waitcnt vmcnt(0)
	v_mul_f64 v[70:71], v[64:65], v[68:69]
	v_fma_f64 v[70:71], v[62:63], v[66:67], -v[70:71]
	v_mul_f64 v[62:63], v[62:63], v[68:69]
	v_fma_f64 v[62:63], v[64:65], v[66:67], v[62:63]
	v_fma_f64 v[66:67], v[24:25], 2.0, -v[26:27]
	v_mul_f64 v[64:65], v[62:63], v[18:19]
	v_mul_f64 v[18:19], v[70:71], v[18:19]
	v_fma_f64 v[64:65], v[16:17], v[70:71], -v[64:65]
	v_fma_f64 v[16:17], v[16:17], v[62:63], v[18:19]
	v_mul_f64 v[18:19], v[20:21], v[16:17]
	v_mul_f64 v[16:17], v[52:53], v[16:17]
	v_fma_f64 v[18:19], v[52:53], v[64:65], v[18:19]
	v_or_b32_e32 v52, 64, v54
	v_mul_lo_u32 v53, v33, v52
	v_fma_f64 v[16:17], v[20:21], v[64:65], -v[16:17]
	v_bfe_u32 v20, v53, 16, 8
	v_lshlrev_b32_sdwa v24, v60, v53 dst_sel:DWORD dst_unused:UNUSED_PAD src0_sel:DWORD src1_sel:BYTE_0
	v_bfe_u32 v53, v53, 8, 8
	v_lshl_or_b32 v20, v20, 4, v61
	v_lshl_or_b32 v53, v53, 4, v32
	global_load_dwordx4 v[20:23], v20, s[0:1]
	s_nop 0
	global_load_dwordx4 v[24:27], v24, s[0:1]
	s_nop 0
	global_load_dwordx4 v[62:65], v53, s[0:1]
	s_waitcnt vmcnt(0)
	v_mul_f64 v[68:69], v[26:27], v[64:65]
	v_fma_f64 v[68:69], v[24:25], v[62:63], -v[68:69]
	v_mul_f64 v[24:25], v[24:25], v[64:65]
	v_fma_f64 v[24:25], v[26:27], v[62:63], v[24:25]
	v_fma_f64 v[62:63], v[34:35], 2.0, -v[36:37]
	v_mul_lo_u32 v34, v33, v56
	v_mul_lo_u32 v33, v33, v54
	v_mul_f64 v[26:27], v[24:25], v[22:23]
	v_mul_f64 v[22:23], v[68:69], v[22:23]
	v_fma_f64 v[26:27], v[20:21], v[68:69], -v[26:27]
	v_fma_f64 v[20:21], v[20:21], v[24:25], v[22:23]
	v_bfe_u32 v24, v34, 16, 8
	v_lshl_or_b32 v24, v24, 4, v61
	v_mul_f64 v[22:23], v[28:29], v[20:21]
	v_mul_f64 v[20:21], v[66:67], v[20:21]
	v_fma_f64 v[22:23], v[66:67], v[26:27], v[22:23]
	v_fma_f64 v[20:21], v[28:29], v[26:27], -v[20:21]
	v_lshlrev_b32_sdwa v28, v60, v34 dst_sel:DWORD dst_unused:UNUSED_PAD src0_sel:DWORD src1_sel:BYTE_0
	v_bfe_u32 v34, v34, 8, 8
	v_lshl_or_b32 v34, v34, 4, v32
	global_load_dwordx4 v[24:27], v24, s[0:1]
	s_nop 0
	global_load_dwordx4 v[28:31], v28, s[0:1]
	s_nop 0
	global_load_dwordx4 v[34:37], v34, s[0:1]
	s_waitcnt vmcnt(0)
	v_mul_f64 v[64:65], v[30:31], v[36:37]
	v_fma_f64 v[64:65], v[28:29], v[34:35], -v[64:65]
	v_mul_f64 v[28:29], v[28:29], v[36:37]
	v_lshlrev_b32_sdwa v36, v60, v33 dst_sel:DWORD dst_unused:UNUSED_PAD src0_sel:DWORD src1_sel:BYTE_0
	v_fma_f64 v[28:29], v[30:31], v[34:35], v[28:29]
	v_fma_f64 v[34:35], v[38:39], 2.0, -v[40:41]
	global_load_dwordx4 v[36:39], v36, s[0:1]
	v_mul_f64 v[30:31], v[28:29], v[26:27]
	v_mul_f64 v[26:27], v[64:65], v[26:27]
	v_fma_f64 v[30:31], v[24:25], v[64:65], -v[30:31]
	v_fma_f64 v[24:25], v[24:25], v[28:29], v[26:27]
	v_bfe_u32 v28, v33, 16, 8
	v_bfe_u32 v33, v33, 8, 8
	v_lshl_or_b32 v28, v28, 4, v61
	v_lshl_or_b32 v32, v33, 4, v32
	v_mul_f64 v[26:27], v[34:35], v[24:25]
	v_mul_f64 v[24:25], v[62:63], v[24:25]
	v_fma_f64 v[26:27], v[62:63], v[30:31], v[26:27]
	v_fma_f64 v[24:25], v[34:35], v[30:31], -v[24:25]
	v_fma_f64 v[34:35], v[42:43], 2.0, -v[44:45]
	global_load_dwordx4 v[28:31], v28, s[0:1]
	s_nop 0
	global_load_dwordx4 v[42:45], v32, s[0:1]
	s_waitcnt vmcnt(0)
	v_mul_f64 v[32:33], v[38:39], v[44:45]
	v_fma_f64 v[40:41], v[36:37], v[42:43], -v[32:33]
	v_mul_f64 v[32:33], v[36:37], v[44:45]
	v_fma_f64 v[36:37], v[46:47], 2.0, -v[48:49]
	v_fma_f64 v[38:39], v[38:39], v[42:43], v[32:33]
	v_mul_f64 v[32:33], v[38:39], v[30:31]
	v_mul_f64 v[30:31], v[40:41], v[30:31]
	v_fma_f64 v[32:33], v[28:29], v[40:41], -v[32:33]
	v_fma_f64 v[28:29], v[28:29], v[38:39], v[30:31]
	v_mul_f64 v[30:31], v[36:37], v[28:29]
	v_mul_f64 v[28:29], v[34:35], v[28:29]
	v_fma_f64 v[38:39], v[34:35], v[32:33], v[30:31]
	v_fma_f64 v[36:37], v[36:37], v[32:33], -v[28:29]
	v_mad_u64_u32 v[28:29], s[0:1], s10, v55, 0
	v_mad_u64_u32 v[29:30], s[0:1], s11, v55, v[29:30]
	;; [unrolled: 1-line block ×3, first 2 shown]
	v_lshlrev_b64 v[28:29], 4, v[28:29]
	v_mad_u64_u32 v[31:32], s[0:1], s9, v54, v[31:32]
	s_lshl_b64 s[0:1], s[2:3], 4
	s_add_u32 s0, s12, s0
	s_addc_u32 s1, s13, s1
	v_add_co_u32_e32 v28, vcc, s0, v28
	v_mov_b32_e32 v32, s1
	v_lshlrev_b64 v[30:31], 4, v[30:31]
	v_addc_co_u32_e32 v29, vcc, v32, v29, vcc
	v_add_co_u32_e32 v30, vcc, v28, v30
	v_addc_co_u32_e32 v31, vcc, v29, v31, vcc
	global_store_dwordx4 v[30:31], v[36:39], off
	v_mad_u64_u32 v[30:31], s[0:1], s8, v56, 0
	v_mad_u64_u32 v[31:32], s[0:1], s9, v56, v[31:32]
	v_lshlrev_b64 v[30:31], 4, v[30:31]
	v_add_co_u32_e32 v30, vcc, v28, v30
	v_addc_co_u32_e32 v31, vcc, v29, v31, vcc
	global_store_dwordx4 v[30:31], v[24:27], off
	s_nop 0
	v_mad_u64_u32 v[24:25], s[0:1], s8, v52, 0
	v_mad_u64_u32 v[25:26], s[0:1], s9, v52, v[25:26]
	v_lshlrev_b64 v[24:25], 4, v[24:25]
	v_add_co_u32_e32 v24, vcc, v28, v24
	v_addc_co_u32_e32 v25, vcc, v29, v25, vcc
	global_store_dwordx4 v[24:25], v[20:23], off
	s_nop 0
	;; [unrolled: 7-line block ×6, first 2 shown]
	v_mad_u64_u32 v[4:5], s[0:1], s8, v57, 0
	v_mad_u64_u32 v[5:6], s[0:1], s9, v57, v[5:6]
	v_lshlrev_b64 v[4:5], 4, v[4:5]
	v_add_co_u32_e32 v4, vcc, v28, v4
	v_addc_co_u32_e32 v5, vcc, v29, v5, vcc
	global_store_dwordx4 v[4:5], v[0:3], off
.LBB0_16:
	s_endpgm
	.section	.rodata,"a",@progbits
	.p2align	6, 0x0
	.amdhsa_kernel fft_rtc_fwd_len256_factors_8_4_8_wgs_512_tpt_32_dim3_dp_ip_CI_sbcc_twdbase8_3step_dirReg
		.amdhsa_group_segment_fixed_size 0
		.amdhsa_private_segment_fixed_size 0
		.amdhsa_kernarg_size 88
		.amdhsa_user_sgpr_count 6
		.amdhsa_user_sgpr_private_segment_buffer 1
		.amdhsa_user_sgpr_dispatch_ptr 0
		.amdhsa_user_sgpr_queue_ptr 0
		.amdhsa_user_sgpr_kernarg_segment_ptr 1
		.amdhsa_user_sgpr_dispatch_id 0
		.amdhsa_user_sgpr_flat_scratch_init 0
		.amdhsa_user_sgpr_private_segment_size 0
		.amdhsa_uses_dynamic_stack 0
		.amdhsa_system_sgpr_private_segment_wavefront_offset 0
		.amdhsa_system_sgpr_workgroup_id_x 1
		.amdhsa_system_sgpr_workgroup_id_y 0
		.amdhsa_system_sgpr_workgroup_id_z 0
		.amdhsa_system_sgpr_workgroup_info 0
		.amdhsa_system_vgpr_workitem_id 0
		.amdhsa_next_free_vgpr 85
		.amdhsa_next_free_sgpr 26
		.amdhsa_reserve_vcc 1
		.amdhsa_reserve_flat_scratch 0
		.amdhsa_float_round_mode_32 0
		.amdhsa_float_round_mode_16_64 0
		.amdhsa_float_denorm_mode_32 3
		.amdhsa_float_denorm_mode_16_64 3
		.amdhsa_dx10_clamp 1
		.amdhsa_ieee_mode 1
		.amdhsa_fp16_overflow 0
		.amdhsa_exception_fp_ieee_invalid_op 0
		.amdhsa_exception_fp_denorm_src 0
		.amdhsa_exception_fp_ieee_div_zero 0
		.amdhsa_exception_fp_ieee_overflow 0
		.amdhsa_exception_fp_ieee_underflow 0
		.amdhsa_exception_fp_ieee_inexact 0
		.amdhsa_exception_int_div_zero 0
	.end_amdhsa_kernel
	.text
.Lfunc_end0:
	.size	fft_rtc_fwd_len256_factors_8_4_8_wgs_512_tpt_32_dim3_dp_ip_CI_sbcc_twdbase8_3step_dirReg, .Lfunc_end0-fft_rtc_fwd_len256_factors_8_4_8_wgs_512_tpt_32_dim3_dp_ip_CI_sbcc_twdbase8_3step_dirReg
                                        ; -- End function
	.section	.AMDGPU.csdata,"",@progbits
; Kernel info:
; codeLenInByte = 5548
; NumSgprs: 30
; NumVgprs: 85
; ScratchSize: 0
; MemoryBound: 1
; FloatMode: 240
; IeeeMode: 1
; LDSByteSize: 0 bytes/workgroup (compile time only)
; SGPRBlocks: 3
; VGPRBlocks: 21
; NumSGPRsForWavesPerEU: 30
; NumVGPRsForWavesPerEU: 85
; Occupancy: 2
; WaveLimiterHint : 1
; COMPUTE_PGM_RSRC2:SCRATCH_EN: 0
; COMPUTE_PGM_RSRC2:USER_SGPR: 6
; COMPUTE_PGM_RSRC2:TRAP_HANDLER: 0
; COMPUTE_PGM_RSRC2:TGID_X_EN: 1
; COMPUTE_PGM_RSRC2:TGID_Y_EN: 0
; COMPUTE_PGM_RSRC2:TGID_Z_EN: 0
; COMPUTE_PGM_RSRC2:TIDIG_COMP_CNT: 0
	.type	__hip_cuid_9749455747e0cd4e,@object ; @__hip_cuid_9749455747e0cd4e
	.section	.bss,"aw",@nobits
	.globl	__hip_cuid_9749455747e0cd4e
__hip_cuid_9749455747e0cd4e:
	.byte	0                               ; 0x0
	.size	__hip_cuid_9749455747e0cd4e, 1

	.ident	"AMD clang version 19.0.0git (https://github.com/RadeonOpenCompute/llvm-project roc-6.4.0 25133 c7fe45cf4b819c5991fe208aaa96edf142730f1d)"
	.section	".note.GNU-stack","",@progbits
	.addrsig
	.addrsig_sym __hip_cuid_9749455747e0cd4e
	.amdgpu_metadata
---
amdhsa.kernels:
  - .args:
      - .actual_access:  read_only
        .address_space:  global
        .offset:         0
        .size:           8
        .value_kind:     global_buffer
      - .address_space:  global
        .offset:         8
        .size:           8
        .value_kind:     global_buffer
      - .actual_access:  read_only
        .address_space:  global
        .offset:         16
        .size:           8
        .value_kind:     global_buffer
      - .actual_access:  read_only
        .address_space:  global
        .offset:         24
        .size:           8
        .value_kind:     global_buffer
      - .offset:         32
        .size:           8
        .value_kind:     by_value
      - .actual_access:  read_only
        .address_space:  global
        .offset:         40
        .size:           8
        .value_kind:     global_buffer
      - .actual_access:  read_only
        .address_space:  global
        .offset:         48
        .size:           8
        .value_kind:     global_buffer
      - .offset:         56
        .size:           4
        .value_kind:     by_value
      - .actual_access:  read_only
        .address_space:  global
        .offset:         64
        .size:           8
        .value_kind:     global_buffer
      - .actual_access:  read_only
        .address_space:  global
        .offset:         72
        .size:           8
        .value_kind:     global_buffer
      - .address_space:  global
        .offset:         80
        .size:           8
        .value_kind:     global_buffer
    .group_segment_fixed_size: 0
    .kernarg_segment_align: 8
    .kernarg_segment_size: 88
    .language:       OpenCL C
    .language_version:
      - 2
      - 0
    .max_flat_workgroup_size: 512
    .name:           fft_rtc_fwd_len256_factors_8_4_8_wgs_512_tpt_32_dim3_dp_ip_CI_sbcc_twdbase8_3step_dirReg
    .private_segment_fixed_size: 0
    .sgpr_count:     30
    .sgpr_spill_count: 0
    .symbol:         fft_rtc_fwd_len256_factors_8_4_8_wgs_512_tpt_32_dim3_dp_ip_CI_sbcc_twdbase8_3step_dirReg.kd
    .uniform_work_group_size: 1
    .uses_dynamic_stack: false
    .vgpr_count:     85
    .vgpr_spill_count: 0
    .wavefront_size: 64
amdhsa.target:   amdgcn-amd-amdhsa--gfx906
amdhsa.version:
  - 1
  - 2
...

	.end_amdgpu_metadata
